;; amdgpu-corpus repo=linkedin/Liger-Kernel kind=triton arch=gfx950 opt=O3 lang=triton
	.amdgcn_target "amdgcn-amd-amdhsa--gfx950"
	.amdhsa_code_object_version 5
	.text
	.globl	_swiglu_forward_kernel          ; -- Begin function _swiglu_forward_kernel
	.p2align	8
	.type	_swiglu_forward_kernel,@function
_swiglu_forward_kernel:                 ; @_swiglu_forward_kernel
.Lfunc_begin0:
	.cfi_sections .debug_frame
	.cfi_startproc
; %bb.1:
	.file	1 "/root/src/amdgpu-assembly/repos/linkedin__Liger-Kernel/triton_aot_kernels" "swiglu_aot.py"
	.loc	1 12 0 prologue_end             ; swiglu_aot.py:12:0
	s_load_dwordx2 s[2:3], s[0:1], 0x0
	s_load_dwordx8 s[4:11], s[0:1], 0x8
	s_load_dwordx2 s[12:13], s[0:1], 0x28
	s_waitcnt lgkmcnt(0)
	s_branch .LBB0_0
	.loc	1 0 0 is_stmt 0                 ; :0:0
.Ltmp0:
	.p2align	8
; %bb.2:
.LBB0_0:
.Ltmp1:
	.loc	1 22 31 is_stmt 1               ; swiglu_aot.py:22:31
	v_readfirstlane_b32 s0, v0
	s_mov_b32 s16, s9
	.loc	1 29 34                         ; swiglu_aot.py:29:34
	s_and_b32 s9, s0, 0x1c0
	.loc	1 18 26                         ; swiglu_aot.py:18:26
	s_mul_hi_i32 s1, s8, s14
	s_mul_i32 s0, s8, s14
	.loc	1 18 13 is_stmt 0               ; swiglu_aot.py:18:13
	s_lshl_b64 s[0:1], s[0:1], 1
	s_add_u32 s8, s2, s0
	s_addc_u32 s2, s3, s1
	.loc	1 19 13 is_stmt 1               ; swiglu_aot.py:19:13
	s_add_u32 s12, s4, s0
	s_addc_u32 s3, s5, s1
	.loc	1 20 13                         ; swiglu_aot.py:20:13
	s_add_u32 s4, s6, s0
	s_addc_u32 s5, s7, s1
	.loc	1 22 31                         ; swiglu_aot.py:22:31
	v_and_or_b32 v0, v0, 63, s9
	.loc	1 26 20                         ; swiglu_aot.py:26:20
	s_and_b32 s9, s2, 0xffff
	s_mov_b32 s11, 0x27000
	s_mov_b32 s10, 0x7ffffffe
	v_bfrev_b32_e32 v12, 1
	v_lshlrev_b32_e32 v16, 1, v0
	buffer_load_ushort v1, v12, s[8:11], 0 offen
	buffer_load_ushort v2, v16, s[8:11], 0 offen offset:1024
	buffer_load_ushort v3, v16, s[8:11], 0 offen
	s_movk_i32 s0, 0x2b00
	.loc	1 22 31                         ; swiglu_aot.py:22:31
	v_or_b32_e32 v0, 0x2a00, v0
	.loc	1 26 20                         ; swiglu_aot.py:26:20
	v_lshlrev_b32_e32 v4, 1, v0
	.loc	1 23 25                         ; swiglu_aot.py:23:25
	v_cmp_gt_u32_e32 vcc, s0, v0
	.loc	1 27 20                         ; swiglu_aot.py:27:20
	s_mov_b32 s14, s10
	s_mov_b32 s15, s11
	.loc	1 26 20                         ; swiglu_aot.py:26:20
	v_cndmask_b32_e32 v14, v12, v4, vcc
	v_or_b32_e32 v19, 0x1000, v16
	v_or_b32_e32 v18, 0x2000, v16
	;; [unrolled: 1-line block ×3, first 2 shown]
	.loc	1 27 20                         ; swiglu_aot.py:27:20
	s_and_b32 s13, s3, 0xffff
	.loc	1 26 20                         ; swiglu_aot.py:26:20
	buffer_load_ushort v4, v16, s[8:11], 0 offen offset:2048
	buffer_load_ushort v5, v16, s[8:11], 0 offen offset:3072
	buffer_load_ushort v8, v19, s[8:11], 0 offen
	buffer_load_ushort v9, v19, s[8:11], 0 offen offset:1024
	buffer_load_ushort v49, v19, s[8:11], 0 offen offset:2048
	buffer_load_ushort v50, v19, s[8:11], 0 offen offset:3072
	buffer_load_ushort v52, v18, s[8:11], 0 offen
	buffer_load_ushort v53, v18, s[8:11], 0 offen offset:1024
	;; [unrolled: 4-line block ×3, first 2 shown]
	buffer_load_ushort v47, v17, s[8:11], 0 offen offset:2048
	buffer_load_ushort v48, v17, s[8:11], 0 offen offset:3072
	.loc	1 27 20                         ; swiglu_aot.py:27:20
	buffer_load_ushort v35, v16, s[12:15], 0 offen
                                        ; kill: killed $sgpr8_sgpr9
	buffer_load_ushort v34, v16, s[12:15], 0 offen offset:1024
	buffer_load_ushort v33, v16, s[12:15], 0 offen offset:2048
	buffer_load_ushort v32, v16, s[12:15], 0 offen offset:3072
	buffer_load_ushort v31, v19, s[12:15], 0 offen
	buffer_load_ushort v30, v19, s[12:15], 0 offen offset:1024
	buffer_load_ushort v29, v19, s[12:15], 0 offen offset:2048
	buffer_load_ushort v28, v19, s[12:15], 0 offen offset:3072
	buffer_load_ushort v27, v18, s[12:15], 0 offen
	;; [unrolled: 4-line block ×3, first 2 shown]
	buffer_load_ushort v22, v17, s[12:15], 0 offen offset:1024
	buffer_load_ushort v21, v17, s[12:15], 0 offen offset:2048
	;; [unrolled: 1-line block ×3, first 2 shown]
	s_mov_b32 s7, 0xc2fc0000
.Ltmp2:
	.file	2 "/root/.local/lib/python3.13/site-packages/triton/language" "standard.py"
	.loc	2 50 29                         ; standard.py:50:29 @[ swiglu_aot.py:9:26 @[ swiglu_aot.py:28:17 ] ]
	v_mov_b32_e32 v38, 0x42800000
	s_mov_b32 s6, 0x3fb8aa3b
	v_not_b32_e32 v44, 63
.Ltmp3:
	.loc	1 26 20                         ; swiglu_aot.py:26:20
	v_or_b32_e32 v15, 0x4000, v16
	v_or_b32_e32 v13, 0x5000, v16
	buffer_load_ushort v45, v15, s[8:11], 0 offen
	buffer_load_ushort v46, v15, s[8:11], 0 offen offset:1024
	buffer_load_ushort v41, v15, s[8:11], 0 offen offset:2048
	buffer_load_ushort v42, v15, s[8:11], 0 offen offset:3072
	buffer_load_ushort v36, v13, s[8:11], 0 offen
	buffer_load_ushort v37, v14, s[8:11], 0 offen
	.loc	1 26 64 is_stmt 0               ; swiglu_aot.py:26:64
	s_waitcnt vmcnt(35)
	v_lshlrev_b32_e32 v4, 16, v4
	s_waitcnt vmcnt(34)
	v_lshlrev_b32_e32 v5, 16, v5
	.loc	1 26 78                         ; swiglu_aot.py:26:78
	v_pk_mul_f32 v[4:5], s[16:17], v[4:5] op_sel_hi:[0,1]
	.loc	1 28 44 is_stmt 1               ; swiglu_aot.py:28:44
	s_waitcnt vmcnt(21)
	v_lshlrev_b32_e32 v35, 16, v35
	.loc	1 26 64                         ; swiglu_aot.py:26:64
	v_lshlrev_b32_e32 v6, 16, v1
	v_lshlrev_b32_e32 v1, 16, v2
.Ltmp4:
	.loc	2 50 30                         ; standard.py:50:30 @[ swiglu_aot.py:9:26 @[ swiglu_aot.py:28:17 ] ]
	v_fma_f32 v2, -s16, v6, 0
.Ltmp5:
	.loc	1 26 64                         ; swiglu_aot.py:26:64
	v_lshlrev_b32_e32 v0, 16, v3
.Ltmp6:
	.loc	2 50 29                         ; standard.py:50:29 @[ swiglu_aot.py:9:26 @[ swiglu_aot.py:28:17 ] ]
	v_mul_f32_e32 v3, 0x3fb8aa3b, v2
	v_cmp_gt_f32_e32 vcc, s7, v3
	s_and_b64 s[2:3], vcc, exec
	s_cselect_b32 s2, 0xffffffc0, 0
	v_cndmask_b32_e32 v3, 0, v38, vcc
	v_fmac_f32_e32 v3, 0x3fb8aa3b, v2
	v_exp_f32_e32 v2, v3
.Ltmp7:
	.loc	1 26 78                         ; swiglu_aot.py:26:78
	v_pk_mul_f32 v[0:1], s[16:17], v[0:1] op_sel_hi:[0,1]
.Ltmp8:
	.loc	2 50 29                         ; standard.py:50:29 @[ swiglu_aot.py:9:26 @[ swiglu_aot.py:28:17 ] ]
	v_mul_f32_e64 v10, -v0, s6
	v_cmp_gt_f32_e64 s[0:1], s7, v10
	v_ldexp_f32 v2, v2, s2
	.loc	2 50 20 is_stmt 0               ; standard.py:50:20 @[ swiglu_aot.py:9:26 @[ swiglu_aot.py:28:17 ] ]
	v_add_f32_e32 v40, 1.0, v2
	.loc	2 50 16                         ; standard.py:50:16 @[ swiglu_aot.py:9:26 @[ swiglu_aot.py:28:17 ] ]
	v_div_scale_f32 v10, s[2:3], v40, v40, 1.0
	v_rcp_f32_e32 v11, v10
.Ltmp9:
	.loc	1 26 78 is_stmt 1               ; swiglu_aot.py:26:78
	v_mul_f32_e32 v39, s16, v6
.Ltmp10:
	.loc	2 50 30                         ; standard.py:50:30 @[ swiglu_aot.py:9:26 @[ swiglu_aot.py:28:17 ] ]
	v_sub_f32_e32 v6, 0, v0
	.loc	2 50 29 is_stmt 0               ; standard.py:50:29 @[ swiglu_aot.py:9:26 @[ swiglu_aot.py:28:17 ] ]
	v_cndmask_b32_e64 v3, 0, v38, s[0:1]
	.loc	2 50 16                         ; standard.py:50:16 @[ swiglu_aot.py:9:26 @[ swiglu_aot.py:28:17 ] ]
	v_fma_f32 v2, -v10, v11, 1.0
	.loc	2 50 29                         ; standard.py:50:29 @[ swiglu_aot.py:9:26 @[ swiglu_aot.py:28:17 ] ]
	v_fmac_f32_e32 v3, 0x3fb8aa3b, v6
	.loc	2 50 16                         ; standard.py:50:16 @[ swiglu_aot.py:9:26 @[ swiglu_aot.py:28:17 ] ]
	v_div_scale_f32 v6, vcc, 1.0, v40, 1.0
	v_fmac_f32_e32 v11, v2, v11
	v_mul_f32_e32 v43, v6, v11
	v_fma_f32 v2, -v10, v43, v6
	v_fmac_f32_e32 v43, v2, v11
	.loc	2 50 29                         ; standard.py:50:29 @[ swiglu_aot.py:9:26 @[ swiglu_aot.py:28:17 ] ]
	v_exp_f32_e32 v2, v3
	v_mul_f32_e64 v3, -v1, s6
	v_cmp_gt_f32_e64 s[2:3], s7, v3
	.loc	2 50 30                         ; standard.py:50:30 @[ swiglu_aot.py:9:26 @[ swiglu_aot.py:28:17 ] ]
	v_sub_f32_e32 v7, 0, v1
	.loc	2 50 16                         ; standard.py:50:16 @[ swiglu_aot.py:9:26 @[ swiglu_aot.py:28:17 ] ]
	v_fma_f32 v6, -v10, v43, v6
	.loc	2 50 29                         ; standard.py:50:29 @[ swiglu_aot.py:9:26 @[ swiglu_aot.py:28:17 ] ]
	v_cndmask_b32_e64 v3, 0, v38, s[2:3]
	v_fmac_f32_e32 v3, 0x3fb8aa3b, v7
	v_exp_f32_e32 v3, v3
	v_cndmask_b32_e64 v7, 0, v44, s[0:1]
	v_ldexp_f32 v2, v2, v7
	v_cndmask_b32_e64 v7, 0, v44, s[2:3]
	v_ldexp_f32 v3, v3, v7
	.loc	2 50 20                         ; standard.py:50:20 @[ swiglu_aot.py:9:26 @[ swiglu_aot.py:28:17 ] ]
	v_pk_add_f32 v[2:3], v[2:3], 1.0 op_sel_hi:[1,0]
	.loc	2 50 16                         ; standard.py:50:16 @[ swiglu_aot.py:9:26 @[ swiglu_aot.py:28:17 ] ]
	v_div_fmas_f32 v43, v6, v11, v43
	v_div_scale_f32 v7, s[0:1], v3, v3, 1.0
	v_rcp_f32_e32 v51, v7
.Ltmp11:
	.loc	1 26 64 is_stmt 1               ; swiglu_aot.py:26:64
	s_waitcnt vmcnt(0)
	v_lshlrev_b32_e32 v37, 16, v37
	v_lshlrev_b32_e32 v36, 16, v36
	.loc	1 26 78 is_stmt 0               ; swiglu_aot.py:26:78
	v_pk_mul_f32 v[36:37], s[16:17], v[36:37] op_sel_hi:[0,1]
.Ltmp12:
	.loc	2 50 16 is_stmt 1               ; standard.py:50:16 @[ swiglu_aot.py:9:26 @[ swiglu_aot.py:28:17 ] ]
	v_fma_f32 v6, -v7, v51, 1.0
	v_fmac_f32_e32 v51, v6, v51
	v_div_scale_f32 v6, vcc, 1.0, v3, 1.0
	v_mul_f32_e32 v10, v6, v51
	v_fma_f32 v11, -v7, v10, v6
	v_fmac_f32_e32 v10, v11, v51
	v_div_scale_f32 v11, s[0:1], v2, v2, 1.0
	v_rcp_f32_e32 v58, v11
	v_fma_f32 v6, -v7, v10, v6
	v_div_fmas_f32 v10, v6, v51, v10
	v_div_fixup_f32 v3, v10, v3, 1.0
	v_fma_f32 v6, -v11, v58, 1.0
	v_fmac_f32_e32 v58, v6, v58
	v_div_scale_f32 v6, vcc, 1.0, v2, 1.0
	v_mul_f32_e32 v7, v6, v58
	v_fma_f32 v51, -v11, v7, v6
	v_fmac_f32_e32 v7, v51, v58
	v_fma_f32 v6, -v11, v7, v6
	.loc	2 50 29 is_stmt 0               ; standard.py:50:29 @[ swiglu_aot.py:9:26 @[ swiglu_aot.py:28:17 ] ]
	v_mul_f32_e64 v51, -v4, s6
	.loc	2 50 16                         ; standard.py:50:16 @[ swiglu_aot.py:9:26 @[ swiglu_aot.py:28:17 ] ]
	v_div_fmas_f32 v11, v6, v58, v7
	.loc	2 50 29                         ; standard.py:50:29 @[ swiglu_aot.py:9:26 @[ swiglu_aot.py:28:17 ] ]
	v_cmp_gt_f32_e32 vcc, s7, v51
	.loc	2 50 30                         ; standard.py:50:30 @[ swiglu_aot.py:9:26 @[ swiglu_aot.py:28:17 ] ]
	v_sub_f32_e32 v6, 0, v4
	v_sub_f32_e32 v7, 0, v5
	.loc	2 50 29                         ; standard.py:50:29 @[ swiglu_aot.py:9:26 @[ swiglu_aot.py:28:17 ] ]
	v_cndmask_b32_e32 v51, 0, v38, vcc
	v_fmac_f32_e32 v51, 0x3fb8aa3b, v6
	v_exp_f32_e32 v6, v51
	v_mul_f32_e64 v51, -v5, s6
	v_cmp_gt_f32_e64 s[0:1], s7, v51
	.loc	2 50 16                         ; standard.py:50:16 @[ swiglu_aot.py:9:26 @[ swiglu_aot.py:28:17 ] ]
	v_div_fixup_f32 v2, v11, v2, 1.0
.Ltmp13:
	.loc	1 9 15 is_stmt 1                ; swiglu_aot.py:9:15 @[ swiglu_aot.py:28:17 ]
	v_pk_mul_f32 v[0:1], v[0:1], v[2:3]
.Ltmp14:
	.loc	2 50 29                         ; standard.py:50:29 @[ swiglu_aot.py:9:26 @[ swiglu_aot.py:28:17 ] ]
	v_cndmask_b32_e64 v51, 0, v38, s[0:1]
	v_fmac_f32_e32 v51, 0x3fb8aa3b, v7
	v_exp_f32_e32 v7, v51
	v_cndmask_b32_e32 v51, 0, v44, vcc
	v_ldexp_f32 v6, v6, v51
	v_cndmask_b32_e64 v51, 0, v44, s[0:1]
	v_ldexp_f32 v7, v7, v51
	.loc	2 50 20 is_stmt 0               ; standard.py:50:20 @[ swiglu_aot.py:9:26 @[ swiglu_aot.py:28:17 ] ]
	v_pk_add_f32 v[6:7], v[6:7], 1.0 op_sel_hi:[1,0]
	.loc	2 50 16                         ; standard.py:50:16 @[ swiglu_aot.py:9:26 @[ swiglu_aot.py:28:17 ] ]
	v_div_fixup_f32 v43, v43, v40, 1.0
	v_div_scale_f32 v51, s[0:1], v7, v7, 1.0
	v_rcp_f32_e32 v58, v51
.Ltmp15:
	.loc	1 28 29 is_stmt 1               ; swiglu_aot.py:28:29
	v_cvt_pk_bf16_f32 v0, v0, v1
	.loc	1 28 44 is_stmt 0               ; swiglu_aot.py:28:44
	v_lshlrev_b32_e32 v34, 16, v34
	v_lshlrev_b32_e32 v33, 16, v33
.Ltmp16:
	.loc	2 50 16 is_stmt 1               ; standard.py:50:16 @[ swiglu_aot.py:9:26 @[ swiglu_aot.py:28:17 ] ]
	v_fma_f32 v2, -v51, v58, 1.0
	v_fmac_f32_e32 v58, v2, v58
	v_div_scale_f32 v2, vcc, 1.0, v7, 1.0
	v_mul_f32_e32 v3, v2, v58
	v_fma_f32 v10, -v51, v3, v2
	v_fmac_f32_e32 v3, v10, v58
	v_div_scale_f32 v10, s[0:1], v6, v6, 1.0
	v_rcp_f32_e32 v11, v10
	v_fma_f32 v2, -v51, v3, v2
	v_div_fmas_f32 v51, v2, v58, v3
.Ltmp17:
	.loc	1 28 44                         ; swiglu_aot.py:28:44
	v_lshlrev_b32_e32 v32, 16, v32
.Ltmp18:
	.loc	2 50 16                         ; standard.py:50:16 @[ swiglu_aot.py:9:26 @[ swiglu_aot.py:28:17 ] ]
	v_fma_f32 v2, -v10, v11, 1.0
	v_fmac_f32_e32 v11, v2, v11
	v_div_scale_f32 v2, vcc, 1.0, v6, 1.0
	v_mul_f32_e32 v3, v2, v11
	v_fma_f32 v58, -v10, v3, v2
	v_fmac_f32_e32 v3, v58, v11
	v_fma_f32 v2, -v10, v3, v2
	v_div_fmas_f32 v58, v2, v11, v3
.Ltmp19:
	.loc	1 26 64                         ; swiglu_aot.py:26:64
	v_lshlrev_b32_e32 v3, 16, v9
	v_lshlrev_b32_e32 v2, 16, v8
	.loc	1 26 78 is_stmt 0               ; swiglu_aot.py:26:78
	v_pk_mul_f32 v[8:9], s[16:17], v[2:3] op_sel_hi:[0,1]
.Ltmp20:
	.loc	2 50 29 is_stmt 1               ; standard.py:50:29 @[ swiglu_aot.py:9:26 @[ swiglu_aot.py:28:17 ] ]
	v_mul_f32_e64 v10, -v8, s6
	v_cmp_gt_f32_e32 vcc, s7, v10
	.loc	2 50 30 is_stmt 0               ; standard.py:50:30 @[ swiglu_aot.py:9:26 @[ swiglu_aot.py:28:17 ] ]
	v_sub_f32_e32 v2, 0, v8
	v_sub_f32_e32 v3, 0, v9
	.loc	2 50 29                         ; standard.py:50:29 @[ swiglu_aot.py:9:26 @[ swiglu_aot.py:28:17 ] ]
	v_cndmask_b32_e32 v10, 0, v38, vcc
	v_fmac_f32_e32 v10, 0x3fb8aa3b, v2
	v_exp_f32_e32 v2, v10
	v_mul_f32_e64 v10, -v9, s6
	v_cmp_gt_f32_e64 s[0:1], s7, v10
.Ltmp21:
	.loc	1 28 44 is_stmt 1               ; swiglu_aot.py:28:44
	v_lshlrev_b32_e32 v31, 16, v31
	v_lshlrev_b32_e32 v30, 16, v30
.Ltmp22:
	.loc	2 50 29                         ; standard.py:50:29 @[ swiglu_aot.py:9:26 @[ swiglu_aot.py:28:17 ] ]
	v_cndmask_b32_e64 v10, 0, v38, s[0:1]
	v_fmac_f32_e32 v10, 0x3fb8aa3b, v3
	v_exp_f32_e32 v3, v10
	v_cndmask_b32_e32 v10, 0, v44, vcc
	v_ldexp_f32 v2, v2, v10
	v_cndmask_b32_e64 v10, 0, v44, s[0:1]
	v_ldexp_f32 v3, v3, v10
	.loc	2 50 20 is_stmt 0               ; standard.py:50:20 @[ swiglu_aot.py:9:26 @[ swiglu_aot.py:28:17 ] ]
	v_pk_add_f32 v[10:11], v[2:3], 1.0 op_sel_hi:[1,0]
	.loc	2 50 16                         ; standard.py:50:16 @[ swiglu_aot.py:9:26 @[ swiglu_aot.py:28:17 ] ]
	v_div_fixup_f32 v3, v51, v7, 1.0
	v_div_scale_f32 v59, s[0:1], v11, v11, 1.0
	v_rcp_f32_e32 v60, v59
	v_div_fixup_f32 v2, v58, v6, 1.0
.Ltmp23:
	.loc	1 9 15 is_stmt 1                ; swiglu_aot.py:9:15 @[ swiglu_aot.py:28:17 ]
	v_pk_mul_f32 v[2:3], v[4:5], v[2:3]
.Ltmp24:
	.loc	1 28 44                         ; swiglu_aot.py:28:44
	v_lshlrev_b32_e32 v29, 16, v29
.Ltmp25:
	.loc	2 50 16                         ; standard.py:50:16 @[ swiglu_aot.py:9:26 @[ swiglu_aot.py:28:17 ] ]
	v_fma_f32 v4, -v59, v60, 1.0
	v_fmac_f32_e32 v60, v4, v60
	v_div_scale_f32 v4, vcc, 1.0, v11, 1.0
	v_mul_f32_e32 v5, v4, v60
	v_fma_f32 v6, -v59, v5, v4
	v_fmac_f32_e32 v5, v6, v60
	v_div_scale_f32 v6, s[0:1], v10, v10, 1.0
	v_rcp_f32_e32 v7, v6
	v_fma_f32 v4, -v59, v5, v4
	v_div_fmas_f32 v58, v4, v60, v5
.Ltmp26:
	.loc	1 28 29                         ; swiglu_aot.py:28:29
	v_cvt_pk_bf16_f32 v1, v2, v3
.Ltmp27:
	.loc	2 50 16                         ; standard.py:50:16 @[ swiglu_aot.py:9:26 @[ swiglu_aot.py:28:17 ] ]
	v_fma_f32 v4, -v6, v7, 1.0
	v_fmac_f32_e32 v7, v4, v7
	v_div_scale_f32 v4, vcc, 1.0, v10, 1.0
	v_mul_f32_e32 v5, v4, v7
	v_fma_f32 v51, -v6, v5, v4
	v_fmac_f32_e32 v5, v51, v7
	v_fma_f32 v4, -v6, v5, v4
	v_div_fmas_f32 v59, v4, v7, v5
.Ltmp28:
	.loc	1 26 64                         ; swiglu_aot.py:26:64
	v_lshlrev_b32_e32 v5, 16, v50
	v_lshlrev_b32_e32 v4, 16, v49
	.loc	1 26 78 is_stmt 0               ; swiglu_aot.py:26:78
	v_pk_mul_f32 v[6:7], s[16:17], v[4:5] op_sel_hi:[0,1]
.Ltmp29:
	.loc	2 50 29 is_stmt 1               ; standard.py:50:29 @[ swiglu_aot.py:9:26 @[ swiglu_aot.py:28:17 ] ]
	v_mul_f32_e64 v49, -v6, s6
	v_cmp_gt_f32_e32 vcc, s7, v49
	.loc	2 50 30 is_stmt 0               ; standard.py:50:30 @[ swiglu_aot.py:9:26 @[ swiglu_aot.py:28:17 ] ]
	v_sub_f32_e32 v4, 0, v6
	v_sub_f32_e32 v5, 0, v7
	.loc	2 50 29                         ; standard.py:50:29 @[ swiglu_aot.py:9:26 @[ swiglu_aot.py:28:17 ] ]
	v_cndmask_b32_e32 v49, 0, v38, vcc
	v_fmac_f32_e32 v49, 0x3fb8aa3b, v4
	v_exp_f32_e32 v4, v49
	v_mul_f32_e64 v49, -v7, s6
	v_cmp_gt_f32_e64 s[0:1], s7, v49
.Ltmp30:
	.loc	1 29 34 is_stmt 1               ; swiglu_aot.py:29:34
	s_and_b32 s5, s5, 0xffff
	.loc	1 28 44                         ; swiglu_aot.py:28:44
	v_lshlrev_b32_e32 v28, 16, v28
.Ltmp31:
	.loc	2 50 29                         ; standard.py:50:29 @[ swiglu_aot.py:9:26 @[ swiglu_aot.py:28:17 ] ]
	v_cndmask_b32_e64 v49, 0, v38, s[0:1]
	v_fmac_f32_e32 v49, 0x3fb8aa3b, v5
	v_exp_f32_e32 v5, v49
	v_cndmask_b32_e32 v49, 0, v44, vcc
	v_ldexp_f32 v4, v4, v49
	v_cndmask_b32_e64 v49, 0, v44, s[0:1]
	v_ldexp_f32 v5, v5, v49
	.loc	2 50 20 is_stmt 0               ; standard.py:50:20 @[ swiglu_aot.py:9:26 @[ swiglu_aot.py:28:17 ] ]
	v_pk_add_f32 v[50:51], v[4:5], 1.0 op_sel_hi:[1,0]
	.loc	2 50 16                         ; standard.py:50:16 @[ swiglu_aot.py:9:26 @[ swiglu_aot.py:28:17 ] ]
	v_div_fixup_f32 v5, v58, v11, 1.0
	v_div_scale_f32 v49, s[0:1], v51, v51, 1.0
	v_rcp_f32_e32 v60, v49
	v_div_fixup_f32 v4, v59, v10, 1.0
.Ltmp32:
	.loc	1 9 15 is_stmt 1                ; swiglu_aot.py:9:15 @[ swiglu_aot.py:28:17 ]
	v_pk_mul_f32 v[4:5], v[8:9], v[4:5]
.Ltmp33:
	.loc	1 28 44                         ; swiglu_aot.py:28:44
	v_lshlrev_b32_e32 v27, 16, v27
.Ltmp34:
	.loc	2 50 16                         ; standard.py:50:16 @[ swiglu_aot.py:9:26 @[ swiglu_aot.py:28:17 ] ]
	v_fma_f32 v8, -v49, v60, 1.0
	v_fmac_f32_e32 v60, v8, v60
	v_div_scale_f32 v8, vcc, 1.0, v51, 1.0
	v_mul_f32_e32 v9, v8, v60
	v_fma_f32 v10, -v49, v9, v8
	v_fmac_f32_e32 v9, v10, v60
	v_div_scale_f32 v10, s[0:1], v50, v50, 1.0
	v_rcp_f32_e32 v11, v10
	v_fma_f32 v8, -v49, v9, v8
	v_div_fmas_f32 v49, v8, v60, v9
	v_div_fixup_f32 v51, v49, v51, 1.0
	v_fma_f32 v8, -v10, v11, 1.0
	v_fmac_f32_e32 v11, v8, v11
	v_div_scale_f32 v8, vcc, 1.0, v50, 1.0
	v_mul_f32_e32 v9, v8, v11
	v_fma_f32 v58, -v10, v9, v8
	v_fmac_f32_e32 v9, v58, v11
	v_fma_f32 v8, -v10, v9, v8
	v_div_fmas_f32 v58, v8, v11, v9
.Ltmp35:
	.loc	1 26 64                         ; swiglu_aot.py:26:64
	v_lshlrev_b32_e32 v9, 16, v53
	v_lshlrev_b32_e32 v8, 16, v52
	.loc	1 26 78 is_stmt 0               ; swiglu_aot.py:26:78
	v_pk_mul_f32 v[8:9], s[16:17], v[8:9] op_sel_hi:[0,1]
.Ltmp36:
	.loc	2 50 29 is_stmt 1               ; standard.py:50:29 @[ swiglu_aot.py:9:26 @[ swiglu_aot.py:28:17 ] ]
	v_mul_f32_e64 v52, -v8, s6
	v_cmp_gt_f32_e32 vcc, s7, v52
	.loc	2 50 30 is_stmt 0               ; standard.py:50:30 @[ swiglu_aot.py:9:26 @[ swiglu_aot.py:28:17 ] ]
	v_sub_f32_e32 v10, 0, v8
	v_sub_f32_e32 v11, 0, v9
	.loc	2 50 29                         ; standard.py:50:29 @[ swiglu_aot.py:9:26 @[ swiglu_aot.py:28:17 ] ]
	v_cndmask_b32_e32 v52, 0, v38, vcc
	v_fmac_f32_e32 v52, 0x3fb8aa3b, v10
	v_exp_f32_e32 v10, v52
	v_mul_f32_e64 v52, -v9, s6
	v_cmp_gt_f32_e64 s[0:1], s7, v52
	.loc	2 50 16                         ; standard.py:50:16 @[ swiglu_aot.py:9:26 @[ swiglu_aot.py:28:17 ] ]
	v_div_fixup_f32 v50, v58, v50, 1.0
.Ltmp37:
	.loc	1 9 15 is_stmt 1                ; swiglu_aot.py:9:15 @[ swiglu_aot.py:28:17 ]
	v_pk_mul_f32 v[6:7], v[6:7], v[50:51]
.Ltmp38:
	.loc	2 50 29                         ; standard.py:50:29 @[ swiglu_aot.py:9:26 @[ swiglu_aot.py:28:17 ] ]
	v_cndmask_b32_e64 v52, 0, v38, s[0:1]
	v_fmac_f32_e32 v52, 0x3fb8aa3b, v11
	v_exp_f32_e32 v11, v52
	v_cndmask_b32_e32 v52, 0, v44, vcc
	v_ldexp_f32 v10, v10, v52
	v_cndmask_b32_e64 v52, 0, v44, s[0:1]
	v_ldexp_f32 v11, v11, v52
	.loc	2 50 20 is_stmt 0               ; standard.py:50:20 @[ swiglu_aot.py:9:26 @[ swiglu_aot.py:28:17 ] ]
	v_pk_add_f32 v[10:11], v[10:11], 1.0 op_sel_hi:[1,0]
.Ltmp39:
	.loc	1 28 29 is_stmt 1               ; swiglu_aot.py:28:29
	v_cvt_pk_bf16_f32 v2, v4, v5
.Ltmp40:
	.loc	2 50 16                         ; standard.py:50:16 @[ swiglu_aot.py:9:26 @[ swiglu_aot.py:28:17 ] ]
	v_div_scale_f32 v52, s[0:1], v11, v11, 1.0
	v_rcp_f32_e32 v53, v52
.Ltmp41:
	.loc	1 28 29                         ; swiglu_aot.py:28:29
	v_cvt_pk_bf16_f32 v3, v6, v7
	.loc	1 28 44 is_stmt 0               ; swiglu_aot.py:28:44
	v_lshlrev_b32_e32 v26, 16, v26
	v_lshlrev_b32_e32 v25, 16, v25
.Ltmp42:
	.loc	2 50 16 is_stmt 1               ; standard.py:50:16 @[ swiglu_aot.py:9:26 @[ swiglu_aot.py:28:17 ] ]
	v_fma_f32 v49, -v52, v53, 1.0
	v_fmac_f32_e32 v53, v49, v53
	v_div_scale_f32 v49, vcc, 1.0, v11, 1.0
	v_mul_f32_e32 v50, v49, v53
	v_fma_f32 v51, -v52, v50, v49
	v_fmac_f32_e32 v50, v51, v53
	v_div_scale_f32 v51, s[0:1], v10, v10, 1.0
	v_rcp_f32_e32 v58, v51
	v_fma_f32 v49, -v52, v50, v49
	v_div_fmas_f32 v49, v49, v53, v50
	v_div_fixup_f32 v11, v49, v11, 1.0
	v_fma_f32 v50, -v51, v58, 1.0
	v_fmac_f32_e32 v58, v50, v58
	v_div_scale_f32 v50, vcc, 1.0, v10, 1.0
	v_mul_f32_e32 v52, v50, v58
	v_fma_f32 v53, -v51, v52, v50
	v_fmac_f32_e32 v52, v53, v58
	v_fma_f32 v50, -v51, v52, v50
	v_div_fmas_f32 v58, v50, v58, v52
.Ltmp43:
	.loc	1 26 64                         ; swiglu_aot.py:26:64
	v_lshlrev_b32_e32 v51, 16, v55
	v_lshlrev_b32_e32 v50, 16, v54
	.loc	1 26 78 is_stmt 0               ; swiglu_aot.py:26:78
	v_pk_mul_f32 v[50:51], s[16:17], v[50:51] op_sel_hi:[0,1]
.Ltmp44:
	.loc	2 50 29 is_stmt 1               ; standard.py:50:29 @[ swiglu_aot.py:9:26 @[ swiglu_aot.py:28:17 ] ]
	v_mul_f32_e64 v54, -v50, s6
	v_cmp_gt_f32_e32 vcc, s7, v54
	.loc	2 50 30 is_stmt 0               ; standard.py:50:30 @[ swiglu_aot.py:9:26 @[ swiglu_aot.py:28:17 ] ]
	v_sub_f32_e32 v52, 0, v50
	v_sub_f32_e32 v53, 0, v51
	.loc	2 50 29                         ; standard.py:50:29 @[ swiglu_aot.py:9:26 @[ swiglu_aot.py:28:17 ] ]
	v_cndmask_b32_e32 v54, 0, v38, vcc
	v_fmac_f32_e32 v54, 0x3fb8aa3b, v52
	v_exp_f32_e32 v52, v54
	v_mul_f32_e64 v54, -v51, s6
	v_cmp_gt_f32_e64 s[0:1], s7, v54
	.loc	2 50 16                         ; standard.py:50:16 @[ swiglu_aot.py:9:26 @[ swiglu_aot.py:28:17 ] ]
	v_div_fixup_f32 v10, v58, v10, 1.0
.Ltmp45:
	.loc	1 9 15 is_stmt 1                ; swiglu_aot.py:9:15 @[ swiglu_aot.py:28:17 ]
	v_pk_mul_f32 v[8:9], v[8:9], v[10:11]
.Ltmp46:
	.loc	2 50 29                         ; standard.py:50:29 @[ swiglu_aot.py:9:26 @[ swiglu_aot.py:28:17 ] ]
	v_cndmask_b32_e64 v54, 0, v38, s[0:1]
	v_fmac_f32_e32 v54, 0x3fb8aa3b, v53
	v_exp_f32_e32 v53, v54
	v_cndmask_b32_e32 v54, 0, v44, vcc
	v_ldexp_f32 v52, v52, v54
	v_cndmask_b32_e64 v54, 0, v44, s[0:1]
	v_ldexp_f32 v53, v53, v54
	.loc	2 50 20 is_stmt 0               ; standard.py:50:20 @[ swiglu_aot.py:9:26 @[ swiglu_aot.py:28:17 ] ]
	v_pk_add_f32 v[52:53], v[52:53], 1.0 op_sel_hi:[1,0]
.Ltmp47:
	.loc	1 28 29 is_stmt 1               ; swiglu_aot.py:28:29
	v_cvt_pk_bf16_f32 v4, v8, v9
.Ltmp48:
	.loc	2 50 16                         ; standard.py:50:16 @[ swiglu_aot.py:9:26 @[ swiglu_aot.py:28:17 ] ]
	v_div_scale_f32 v54, s[0:1], v53, v53, 1.0
	v_rcp_f32_e32 v55, v54
.Ltmp49:
	.loc	1 28 44                         ; swiglu_aot.py:28:44
	v_lshlrev_b32_e32 v24, 16, v24
	v_lshlrev_b32_e32 v23, 16, v23
	;; [unrolled: 1-line block ×3, first 2 shown]
.Ltmp50:
	.loc	2 50 16                         ; standard.py:50:16 @[ swiglu_aot.py:9:26 @[ swiglu_aot.py:28:17 ] ]
	v_fma_f32 v10, -v54, v55, 1.0
	v_fmac_f32_e32 v55, v10, v55
	v_div_scale_f32 v10, vcc, 1.0, v53, 1.0
	v_mul_f32_e32 v11, v10, v55
	v_fma_f32 v49, -v54, v11, v10
	v_fmac_f32_e32 v11, v49, v55
	v_div_scale_f32 v49, s[0:1], v52, v52, 1.0
	v_rcp_f32_e32 v58, v49
	v_fma_f32 v10, -v54, v11, v10
	v_div_fmas_f32 v59, v10, v55, v11
.Ltmp51:
	.loc	1 28 44                         ; swiglu_aot.py:28:44
	v_lshlrev_b32_e32 v21, 16, v21
.Ltmp52:
	.loc	2 50 16                         ; standard.py:50:16 @[ swiglu_aot.py:9:26 @[ swiglu_aot.py:28:17 ] ]
	v_fma_f32 v10, -v49, v58, 1.0
	v_fmac_f32_e32 v58, v10, v58
	v_div_scale_f32 v10, vcc, 1.0, v52, 1.0
	v_mul_f32_e32 v11, v10, v58
	v_fma_f32 v54, -v49, v11, v10
	v_fmac_f32_e32 v11, v54, v58
	v_fma_f32 v10, -v49, v11, v10
	v_div_fmas_f32 v49, v10, v58, v11
.Ltmp53:
	.loc	1 26 64                         ; swiglu_aot.py:26:64
	v_lshlrev_b32_e32 v11, 16, v57
	v_lshlrev_b32_e32 v10, 16, v56
	.loc	1 26 78 is_stmt 0               ; swiglu_aot.py:26:78
	v_pk_mul_f32 v[54:55], s[16:17], v[10:11] op_sel_hi:[0,1]
.Ltmp54:
	.loc	2 50 29 is_stmt 1               ; standard.py:50:29 @[ swiglu_aot.py:9:26 @[ swiglu_aot.py:28:17 ] ]
	v_mul_f32_e64 v56, -v54, s6
	v_cmp_gt_f32_e32 vcc, s7, v56
	.loc	2 50 30 is_stmt 0               ; standard.py:50:30 @[ swiglu_aot.py:9:26 @[ swiglu_aot.py:28:17 ] ]
	v_sub_f32_e32 v10, 0, v54
	v_sub_f32_e32 v11, 0, v55
	.loc	2 50 29                         ; standard.py:50:29 @[ swiglu_aot.py:9:26 @[ swiglu_aot.py:28:17 ] ]
	v_cndmask_b32_e32 v56, 0, v38, vcc
	v_fmac_f32_e32 v56, 0x3fb8aa3b, v10
	v_exp_f32_e32 v10, v56
	v_mul_f32_e64 v56, -v55, s6
	v_cmp_gt_f32_e64 s[0:1], s7, v56
.Ltmp55:
	.loc	1 28 44 is_stmt 1               ; swiglu_aot.py:28:44
	v_lshlrev_b32_e32 v20, 16, v20
.Ltmp56:
	.loc	2 50 29                         ; standard.py:50:29 @[ swiglu_aot.py:9:26 @[ swiglu_aot.py:28:17 ] ]
	s_nop 0
	v_cndmask_b32_e64 v56, 0, v38, s[0:1]
	v_fmac_f32_e32 v56, 0x3fb8aa3b, v11
	v_exp_f32_e32 v11, v56
	v_cndmask_b32_e32 v56, 0, v44, vcc
	v_ldexp_f32 v10, v10, v56
	v_cndmask_b32_e64 v56, 0, v44, s[0:1]
	v_ldexp_f32 v11, v11, v56
	.loc	2 50 20 is_stmt 0               ; standard.py:50:20 @[ swiglu_aot.py:9:26 @[ swiglu_aot.py:28:17 ] ]
	v_pk_add_f32 v[56:57], v[10:11], 1.0 op_sel_hi:[1,0]
	.loc	2 50 16                         ; standard.py:50:16 @[ swiglu_aot.py:9:26 @[ swiglu_aot.py:28:17 ] ]
	v_div_fixup_f32 v10, v49, v52, 1.0
	v_div_scale_f32 v58, s[0:1], v57, v57, 1.0
	v_rcp_f32_e32 v60, v58
	v_div_fixup_f32 v11, v59, v53, 1.0
.Ltmp57:
	.loc	1 9 15 is_stmt 1                ; swiglu_aot.py:9:15 @[ swiglu_aot.py:28:17 ]
	v_pk_mul_f32 v[10:11], v[50:51], v[10:11]
.Ltmp58:
	.loc	2 50 16                         ; standard.py:50:16 @[ swiglu_aot.py:9:26 @[ swiglu_aot.py:28:17 ] ]
	v_fma_f32 v49, -v58, v60, 1.0
	v_fmac_f32_e32 v60, v49, v60
	v_div_scale_f32 v49, vcc, 1.0, v57, 1.0
	v_mul_f32_e32 v50, v49, v60
	v_fma_f32 v51, -v58, v50, v49
	v_fmac_f32_e32 v50, v51, v60
	v_div_scale_f32 v51, s[0:1], v56, v56, 1.0
	v_rcp_f32_e32 v52, v51
	v_fma_f32 v49, -v58, v50, v49
	v_div_fmas_f32 v53, v49, v60, v50
	v_div_fixup_f32 v53, v53, v57, 1.0
	v_fma_f32 v49, -v51, v52, 1.0
	v_fmac_f32_e32 v52, v49, v52
	v_div_scale_f32 v49, vcc, 1.0, v56, 1.0
	v_mul_f32_e32 v50, v49, v52
	v_fma_f32 v58, -v51, v50, v49
	v_fmac_f32_e32 v50, v58, v52
	v_fma_f32 v49, -v51, v50, v49
	v_div_fmas_f32 v52, v49, v52, v50
.Ltmp59:
	.loc	1 26 64                         ; swiglu_aot.py:26:64
	v_lshlrev_b32_e32 v49, 16, v48
	v_lshlrev_b32_e32 v48, 16, v47
	.loc	1 26 78 is_stmt 0               ; swiglu_aot.py:26:78
	v_pk_mul_f32 v[48:49], s[16:17], v[48:49] op_sel_hi:[0,1]
.Ltmp60:
	.loc	2 50 29 is_stmt 1               ; standard.py:50:29 @[ swiglu_aot.py:9:26 @[ swiglu_aot.py:28:17 ] ]
	v_mul_f32_e64 v51, -v48, s6
	v_cmp_gt_f32_e32 vcc, s7, v51
	.loc	2 50 30 is_stmt 0               ; standard.py:50:30 @[ swiglu_aot.py:9:26 @[ swiglu_aot.py:28:17 ] ]
	v_sub_f32_e32 v47, 0, v48
	v_sub_f32_e32 v50, 0, v49
	.loc	2 50 29                         ; standard.py:50:29 @[ swiglu_aot.py:9:26 @[ swiglu_aot.py:28:17 ] ]
	v_cndmask_b32_e32 v51, 0, v38, vcc
	v_fmac_f32_e32 v51, 0x3fb8aa3b, v47
	v_exp_f32_e32 v47, v51
	v_mul_f32_e64 v51, -v49, s6
	v_cmp_gt_f32_e64 s[0:1], s7, v51
	.loc	2 50 16                         ; standard.py:50:16 @[ swiglu_aot.py:9:26 @[ swiglu_aot.py:28:17 ] ]
	v_div_fixup_f32 v52, v52, v56, 1.0
.Ltmp61:
	.loc	1 9 15 is_stmt 1                ; swiglu_aot.py:9:15 @[ swiglu_aot.py:28:17 ]
	v_pk_mul_f32 v[52:53], v[54:55], v[52:53]
.Ltmp62:
	.loc	2 50 29                         ; standard.py:50:29 @[ swiglu_aot.py:9:26 @[ swiglu_aot.py:28:17 ] ]
	v_cndmask_b32_e64 v51, 0, v38, s[0:1]
	v_fmac_f32_e32 v51, 0x3fb8aa3b, v50
	v_exp_f32_e32 v51, v51
	v_cndmask_b32_e32 v50, 0, v44, vcc
	v_ldexp_f32 v50, v47, v50
	v_cndmask_b32_e64 v47, 0, v44, s[0:1]
	v_ldexp_f32 v51, v51, v47
	.loc	2 50 20 is_stmt 0               ; standard.py:50:20 @[ swiglu_aot.py:9:26 @[ swiglu_aot.py:28:17 ] ]
	v_pk_add_f32 v[50:51], v[50:51], 1.0 op_sel_hi:[1,0]
.Ltmp63:
	.loc	1 28 29 is_stmt 1               ; swiglu_aot.py:28:29
	v_cvt_pk_bf16_f32 v5, v10, v11
.Ltmp64:
	.loc	2 50 16                         ; standard.py:50:16 @[ swiglu_aot.py:9:26 @[ swiglu_aot.py:28:17 ] ]
	v_div_scale_f32 v47, s[0:1], v51, v51, 1.0
	v_rcp_f32_e32 v58, v47
.Ltmp65:
	.loc	1 28 29                         ; swiglu_aot.py:28:29
	v_cvt_pk_bf16_f32 v6, v52, v53
.Ltmp66:
	.loc	2 50 16                         ; standard.py:50:16 @[ swiglu_aot.py:9:26 @[ swiglu_aot.py:28:17 ] ]
	v_fma_f32 v54, -v47, v58, 1.0
	v_fmac_f32_e32 v58, v54, v58
	v_div_scale_f32 v54, vcc, 1.0, v51, 1.0
	v_mul_f32_e32 v55, v54, v58
	v_fma_f32 v56, -v47, v55, v54
	v_fmac_f32_e32 v55, v56, v58
	v_div_scale_f32 v56, s[0:1], v50, v50, 1.0
	v_rcp_f32_e32 v57, v56
	v_fma_f32 v47, -v47, v55, v54
	v_div_fmas_f32 v58, v47, v58, v55
	v_div_fixup_f32 v51, v58, v51, 1.0
	v_fma_f32 v47, -v56, v57, 1.0
	v_fmac_f32_e32 v57, v47, v57
	v_div_scale_f32 v47, vcc, 1.0, v50, 1.0
	v_mul_f32_e32 v54, v47, v57
	v_fma_f32 v55, -v56, v54, v47
	v_fmac_f32_e32 v54, v55, v57
	v_fma_f32 v47, -v56, v54, v47
	v_div_fmas_f32 v56, v47, v57, v54
.Ltmp67:
	.loc	1 26 64                         ; swiglu_aot.py:26:64
	v_lshlrev_b32_e32 v47, 16, v46
	v_lshlrev_b32_e32 v46, 16, v45
	.loc	1 26 78 is_stmt 0               ; swiglu_aot.py:26:78
	v_pk_mul_f32 v[46:47], s[16:17], v[46:47] op_sel_hi:[0,1]
.Ltmp68:
	.loc	2 50 29 is_stmt 1               ; standard.py:50:29 @[ swiglu_aot.py:9:26 @[ swiglu_aot.py:28:17 ] ]
	v_mul_f32_e64 v55, -v46, s6
	v_cmp_gt_f32_e32 vcc, s7, v55
	.loc	2 50 30 is_stmt 0               ; standard.py:50:30 @[ swiglu_aot.py:9:26 @[ swiglu_aot.py:28:17 ] ]
	v_sub_f32_e32 v45, 0, v46
	v_sub_f32_e32 v54, 0, v47
	.loc	2 50 29                         ; standard.py:50:29 @[ swiglu_aot.py:9:26 @[ swiglu_aot.py:28:17 ] ]
	v_cndmask_b32_e32 v55, 0, v38, vcc
	v_fmac_f32_e32 v55, 0x3fb8aa3b, v45
	v_exp_f32_e32 v45, v55
	v_mul_f32_e64 v55, -v47, s6
	v_cmp_gt_f32_e64 s[0:1], s7, v55
	.loc	2 50 16                         ; standard.py:50:16 @[ swiglu_aot.py:9:26 @[ swiglu_aot.py:28:17 ] ]
	v_div_fixup_f32 v50, v56, v50, 1.0
.Ltmp69:
	.loc	1 9 15 is_stmt 1                ; swiglu_aot.py:9:15 @[ swiglu_aot.py:28:17 ]
	v_pk_mul_f32 v[48:49], v[48:49], v[50:51]
.Ltmp70:
	.loc	2 50 29                         ; standard.py:50:29 @[ swiglu_aot.py:9:26 @[ swiglu_aot.py:28:17 ] ]
	v_cndmask_b32_e64 v55, 0, v38, s[0:1]
	v_fmac_f32_e32 v55, 0x3fb8aa3b, v54
	v_exp_f32_e32 v55, v55
	v_cndmask_b32_e32 v54, 0, v44, vcc
	v_ldexp_f32 v54, v45, v54
	v_cndmask_b32_e64 v45, 0, v44, s[0:1]
	v_ldexp_f32 v55, v55, v45
	.loc	2 50 20 is_stmt 0               ; standard.py:50:20 @[ swiglu_aot.py:9:26 @[ swiglu_aot.py:28:17 ] ]
	v_pk_add_f32 v[54:55], v[54:55], 1.0 op_sel_hi:[1,0]
.Ltmp71:
	.loc	1 28 29 is_stmt 1               ; swiglu_aot.py:28:29
	v_cvt_pk_bf16_f32 v7, v48, v49
.Ltmp72:
	.loc	2 50 16                         ; standard.py:50:16 @[ swiglu_aot.py:9:26 @[ swiglu_aot.py:28:17 ] ]
	v_div_scale_f32 v45, s[0:1], v55, v55, 1.0
	v_rcp_f32_e32 v57, v45
	s_nop 0
	v_fma_f32 v50, -v45, v57, 1.0
	v_fmac_f32_e32 v57, v50, v57
	v_div_scale_f32 v50, vcc, 1.0, v55, 1.0
	v_mul_f32_e32 v51, v50, v57
	v_fma_f32 v56, -v45, v51, v50
	v_fmac_f32_e32 v51, v56, v57
	v_div_scale_f32 v56, s[0:1], v54, v54, 1.0
	v_rcp_f32_e32 v58, v56
	v_fma_f32 v45, -v45, v51, v50
	v_div_fmas_f32 v45, v45, v57, v51
	v_div_fixup_f32 v55, v45, v55, 1.0
	v_fma_f32 v50, -v56, v58, 1.0
	v_fmac_f32_e32 v58, v50, v58
	v_div_scale_f32 v50, vcc, 1.0, v54, 1.0
	v_mul_f32_e32 v51, v50, v58
	v_fma_f32 v57, -v56, v51, v50
	v_fmac_f32_e32 v51, v57, v58
	v_fma_f32 v50, -v56, v51, v50
	v_div_fmas_f32 v58, v50, v58, v51
.Ltmp73:
	.loc	1 26 64                         ; swiglu_aot.py:26:64
	v_lshlrev_b32_e32 v51, 16, v42
	v_lshlrev_b32_e32 v50, 16, v41
	.loc	1 26 78 is_stmt 0               ; swiglu_aot.py:26:78
	v_pk_mul_f32 v[50:51], s[16:17], v[50:51] op_sel_hi:[0,1]
.Ltmp74:
	.loc	2 50 29 is_stmt 1               ; standard.py:50:29 @[ swiglu_aot.py:9:26 @[ swiglu_aot.py:28:17 ] ]
	v_mul_f32_e64 v56, -v50, s6
	v_cmp_gt_f32_e32 vcc, s7, v56
	.loc	2 50 30 is_stmt 0               ; standard.py:50:30 @[ swiglu_aot.py:9:26 @[ swiglu_aot.py:28:17 ] ]
	v_sub_f32_e32 v41, 0, v50
	v_sub_f32_e32 v42, 0, v51
	.loc	2 50 29                         ; standard.py:50:29 @[ swiglu_aot.py:9:26 @[ swiglu_aot.py:28:17 ] ]
	v_cndmask_b32_e32 v56, 0, v38, vcc
	v_fmac_f32_e32 v56, 0x3fb8aa3b, v41
	v_exp_f32_e32 v41, v56
	v_mul_f32_e64 v56, -v51, s6
	v_cmp_gt_f32_e64 s[0:1], s7, v56
	.loc	2 50 16                         ; standard.py:50:16 @[ swiglu_aot.py:9:26 @[ swiglu_aot.py:28:17 ] ]
	v_div_fixup_f32 v54, v58, v54, 1.0
.Ltmp75:
	.loc	1 9 15 is_stmt 1                ; swiglu_aot.py:9:15 @[ swiglu_aot.py:28:17 ]
	v_pk_mul_f32 v[46:47], v[46:47], v[54:55]
.Ltmp76:
	.loc	2 50 29                         ; standard.py:50:29 @[ swiglu_aot.py:9:26 @[ swiglu_aot.py:28:17 ] ]
	v_cndmask_b32_e64 v56, 0, v38, s[0:1]
	v_fmac_f32_e32 v56, 0x3fb8aa3b, v42
	v_exp_f32_e32 v42, v56
	v_cndmask_b32_e32 v56, 0, v44, vcc
	v_ldexp_f32 v56, v41, v56
	v_cndmask_b32_e64 v41, 0, v44, s[0:1]
	v_ldexp_f32 v57, v42, v41
	.loc	2 50 20 is_stmt 0               ; standard.py:50:20 @[ swiglu_aot.py:9:26 @[ swiglu_aot.py:28:17 ] ]
	v_pk_add_f32 v[56:57], v[56:57], 1.0 op_sel_hi:[1,0]
.Ltmp77:
	.loc	1 28 29 is_stmt 1               ; swiglu_aot.py:28:29
	v_cvt_pk_bf16_f32 v8, v46, v47
.Ltmp78:
	.loc	2 50 16                         ; standard.py:50:16 @[ swiglu_aot.py:9:26 @[ swiglu_aot.py:28:17 ] ]
	v_div_scale_f32 v41, s[0:1], v57, v57, 1.0
	v_rcp_f32_e32 v42, v41
	s_nop 0
	v_fma_f32 v45, -v41, v42, 1.0
	v_fmac_f32_e32 v42, v45, v42
	v_div_scale_f32 v45, vcc, 1.0, v57, 1.0
	v_mul_f32_e32 v54, v45, v42
	v_fma_f32 v55, -v41, v54, v45
	v_fmac_f32_e32 v54, v55, v42
	v_div_scale_f32 v55, s[0:1], v56, v56, 1.0
	v_rcp_f32_e32 v58, v55
	v_fma_f32 v41, -v41, v54, v45
	v_div_fmas_f32 v41, v41, v42, v54
	v_div_fixup_f32 v45, v41, v57, 1.0
	v_fma_f32 v41, -v55, v58, 1.0
	v_fmac_f32_e32 v58, v41, v58
	v_div_scale_f32 v41, vcc, 1.0, v56, 1.0
	v_mul_f32_e32 v42, v41, v58
	v_fma_f32 v54, -v55, v42, v41
	v_fmac_f32_e32 v42, v54, v58
	v_fma_f32 v41, -v55, v42, v41
	.loc	2 50 29 is_stmt 0               ; standard.py:50:29 @[ swiglu_aot.py:9:26 @[ swiglu_aot.py:28:17 ] ]
	v_mul_f32_e64 v55, -v36, s6
	v_cmp_gt_f32_e64 s[0:1], s7, v55
	.loc	2 50 30                         ; standard.py:50:30 @[ swiglu_aot.py:9:26 @[ swiglu_aot.py:28:17 ] ]
	v_sub_f32_e32 v54, 0, v36
	.loc	2 50 16                         ; standard.py:50:16 @[ swiglu_aot.py:9:26 @[ swiglu_aot.py:28:17 ] ]
	v_div_fmas_f32 v41, v41, v58, v42
	.loc	2 50 29                         ; standard.py:50:29 @[ swiglu_aot.py:9:26 @[ swiglu_aot.py:28:17 ] ]
	v_cndmask_b32_e64 v55, 0, v38, s[0:1]
	v_fmac_f32_e32 v55, 0x3fb8aa3b, v54
	v_mul_f32_e64 v54, -v37, s6
	v_cmp_gt_f32_e64 s[2:3], s7, v54
	.loc	2 50 30                         ; standard.py:50:30 @[ swiglu_aot.py:9:26 @[ swiglu_aot.py:28:17 ] ]
	v_sub_f32_e32 v54, 0, v37
	.loc	2 50 29                         ; standard.py:50:29 @[ swiglu_aot.py:9:26 @[ swiglu_aot.py:28:17 ] ]
	v_exp_f32_e32 v55, v55
	v_cndmask_b32_e64 v38, 0, v38, s[2:3]
	v_fmac_f32_e32 v38, 0x3fb8aa3b, v54
	v_exp_f32_e32 v38, v38
	v_cndmask_b32_e64 v54, 0, v44, s[0:1]
	v_cndmask_b32_e64 v44, 0, v44, s[2:3]
	v_ldexp_f32 v54, v55, v54
	v_ldexp_f32 v55, v38, v44
	.loc	2 50 20                         ; standard.py:50:20 @[ swiglu_aot.py:9:26 @[ swiglu_aot.py:28:17 ] ]
	v_pk_add_f32 v[54:55], v[54:55], 1.0 op_sel_hi:[1,0]
	.loc	2 50 16                         ; standard.py:50:16 @[ swiglu_aot.py:9:26 @[ swiglu_aot.py:28:17 ] ]
	v_div_fixup_f32 v44, v41, v56, 1.0
	v_div_scale_f32 v38, s[0:1], v55, v55, 1.0
	v_rcp_f32_e32 v57, v38
.Ltmp79:
	.loc	1 9 15 is_stmt 1                ; swiglu_aot.py:9:15 @[ swiglu_aot.py:28:17 ]
	v_pk_mul_f32 v[44:45], v[50:51], v[44:45]
.Ltmp80:
	.loc	1 29 34                         ; swiglu_aot.py:29:34
	s_mov_b32 s6, s10
	s_mov_b32 s7, s11
.Ltmp81:
	.loc	2 50 16                         ; standard.py:50:16 @[ swiglu_aot.py:9:26 @[ swiglu_aot.py:28:17 ] ]
	v_fma_f32 v41, -v38, v57, 1.0
	v_fmac_f32_e32 v57, v41, v57
	v_div_scale_f32 v41, vcc, 1.0, v55, 1.0
	v_mul_f32_e32 v42, v41, v57
	v_fma_f32 v50, -v38, v42, v41
	v_fmac_f32_e32 v42, v50, v57
	v_div_scale_f32 v50, s[0:1], v54, v54, 1.0
	v_rcp_f32_e32 v51, v50
	v_fma_f32 v38, -v38, v42, v41
	v_div_fmas_f32 v38, v38, v57, v42
	s_movk_i32 s0, 0x7fff
	v_fma_f32 v41, -v50, v51, 1.0
	v_fmac_f32_e32 v51, v41, v51
	v_div_scale_f32 v41, vcc, 1.0, v54, 1.0
	v_mul_f32_e32 v42, v41, v51
	v_fma_f32 v56, -v50, v42, v41
	v_fmac_f32_e32 v42, v56, v51
	v_fma_f32 v41, -v50, v42, v41
	v_div_fmas_f32 v42, v41, v51, v42
.Ltmp82:
	.loc	1 27 20                         ; swiglu_aot.py:27:20
	buffer_load_ushort v50, v15, s[12:15], 0 offen
	buffer_load_ushort v51, v15, s[12:15], 0 offen offset:1024
	buffer_load_ushort v56, v15, s[12:15], 0 offen offset:2048
	;; [unrolled: 1-line block ×3, first 2 shown]
	buffer_load_ushort v58, v13, s[12:15], 0 offen
	buffer_load_ushort v59, v14, s[12:15], 0 offen
	;; [unrolled: 1-line block ×3, first 2 shown]
.Ltmp83:
	.loc	2 50 16                         ; standard.py:50:16 @[ swiglu_aot.py:9:26 @[ swiglu_aot.py:28:17 ] ]
	v_div_fixup_f32 v41, v38, v55, 1.0
	v_div_fixup_f32 v40, v42, v54, 1.0
.Ltmp84:
	.loc	1 9 15                          ; swiglu_aot.py:9:15 @[ swiglu_aot.py:28:17 ]
	v_pk_mul_f32 v[36:37], v[36:37], v[40:41]
	v_mul_f32_e32 v38, v39, v43
.Ltmp85:
	.loc	1 28 29                         ; swiglu_aot.py:28:29
	v_cvt_pk_bf16_f32 v10, v36, v37
	.loc	1 28 44 is_stmt 0               ; swiglu_aot.py:28:44
	v_lshlrev_b32_e32 v36, 16, v0
	v_mul_f32_e32 v35, v35, v36
	v_and_b32_e32 v0, 0xffff0000, v0
	v_bfe_u32 v36, v35, 16, 1
	v_mul_f32_e32 v0, v34, v0
	v_lshlrev_b32_e32 v37, 16, v1
	.loc	1 28 29                         ; swiglu_aot.py:28:29
	v_cvt_pk_bf16_f32 v11, v38, v38
	.loc	1 28 44                         ; swiglu_aot.py:28:44
	v_add3_u32 v36, v35, v36, s0
	v_bfe_u32 v34, v0, 16, 1
	v_mul_f32_e32 v33, v33, v37
	v_and_b32_e32 v1, 0xffff0000, v1
	v_lshrrev_b32_e32 v36, 16, v36
	v_add3_u32 v34, v0, v34, s0
	v_bfe_u32 v37, v33, 16, 1
	v_mul_f32_e32 v1, v32, v1
	v_lshlrev_b32_e32 v38, 16, v2
	v_lshlrev_b32_e32 v53, 16, v11
	v_cmp_o_f32_e32 vcc, v35, v35
	v_lshrrev_b32_e32 v34, 16, v34
	v_add3_u32 v37, v33, v37, s0
	v_bfe_u32 v32, v1, 16, 1
	v_mul_f32_e32 v31, v31, v38
	v_and_b32_e32 v2, 0xffff0000, v2
	v_lshrrev_b32_e32 v37, 16, v37
	v_add3_u32 v32, v1, v32, s0
	v_bfe_u32 v38, v31, 16, 1
	v_mul_f32_e32 v2, v30, v2
	v_lshlrev_b32_e32 v39, 16, v3
	v_lshrrev_b32_e32 v32, 16, v32
	v_add3_u32 v38, v31, v38, s0
	v_bfe_u32 v30, v2, 16, 1
	v_mul_f32_e32 v29, v29, v39
	v_and_b32_e32 v3, 0xffff0000, v3
	v_lshrrev_b32_e32 v38, 16, v38
	v_add3_u32 v30, v2, v30, s0
	v_bfe_u32 v39, v29, 16, 1
	v_mul_f32_e32 v3, v28, v3
	v_lshlrev_b32_e32 v40, 16, v4
	;; [unrolled: 10-line block ×5, first 2 shown]
	v_lshrrev_b32_e32 v24, 16, v24
	v_add3_u32 v42, v23, v42, s0
	s_waitcnt vmcnt(4)
	v_lshlrev_b32_e32 v48, 16, v56
	v_mov_b32_e32 v56, 0xffff
	v_bfi_b32 v11, v56, 0, v11
	v_mov_b32_e32 v56, 0x7fff
	v_cndmask_b32_e32 v35, v56, v36, vcc
	v_cmp_o_f32_e32 vcc, v0, v0
	.loc	1 29 34 is_stmt 1               ; swiglu_aot.py:29:34
	buffer_store_short v35, v16, s[4:7], 0 offen
	.loc	1 28 44                         ; swiglu_aot.py:28:44
	v_bfe_u32 v22, v6, 16, 1
	v_cndmask_b32_e32 v0, v56, v34, vcc
	v_cmp_o_f32_e32 vcc, v33, v33
	.loc	1 29 34                         ; swiglu_aot.py:29:34
	buffer_store_short v0, v16, s[4:7], 0 offen offset:1024
	.loc	1 28 44                         ; swiglu_aot.py:28:44
	v_mul_f32_e32 v21, v21, v43
	v_cndmask_b32_e32 v0, v56, v37, vcc
	v_cmp_o_f32_e32 vcc, v1, v1
	.loc	1 29 34                         ; swiglu_aot.py:29:34
	buffer_store_short v0, v16, s[4:7], 0 offen offset:2048
	.loc	1 28 44                         ; swiglu_aot.py:28:44
	v_and_b32_e32 v7, 0xffff0000, v7
	v_cndmask_b32_e32 v0, v56, v32, vcc
	v_cmp_o_f32_e32 vcc, v31, v31
	.loc	1 29 34                         ; swiglu_aot.py:29:34
	buffer_store_short v0, v16, s[4:7], 0 offen offset:3072
	.loc	1 28 29                         ; swiglu_aot.py:28:29
	v_cvt_pk_bf16_f32 v9, v44, v45
	.loc	1 28 44 is_stmt 0               ; swiglu_aot.py:28:44
	v_cndmask_b32_e32 v0, v56, v38, vcc
	v_cmp_o_f32_e32 vcc, v2, v2
	.loc	1 29 34 is_stmt 1               ; swiglu_aot.py:29:34
	buffer_store_short v0, v19, s[4:7], 0 offen
	.loc	1 28 44                         ; swiglu_aot.py:28:44
	v_lshrrev_b32_e32 v42, 16, v42
	v_cndmask_b32_e32 v0, v56, v30, vcc
	v_cmp_o_f32_e32 vcc, v29, v29
	.loc	1 29 34                         ; swiglu_aot.py:29:34
	buffer_store_short v0, v19, s[4:7], 0 offen offset:1024
	.loc	1 28 44                         ; swiglu_aot.py:28:44
	v_add3_u32 v22, v6, v22, s0
	v_cndmask_b32_e32 v0, v56, v39, vcc
	v_cmp_o_f32_e32 vcc, v3, v3
	.loc	1 29 34                         ; swiglu_aot.py:29:34
	buffer_store_short v0, v19, s[4:7], 0 offen offset:2048
	.loc	1 28 44                         ; swiglu_aot.py:28:44
	v_bfe_u32 v43, v21, 16, 1
	v_cndmask_b32_e32 v0, v56, v28, vcc
	v_cmp_o_f32_e32 vcc, v27, v27
	.loc	1 29 34                         ; swiglu_aot.py:29:34
	buffer_store_short v0, v19, s[4:7], 0 offen offset:3072
	.loc	1 28 44                         ; swiglu_aot.py:28:44
	v_mul_f32_e32 v7, v20, v7
	v_cndmask_b32_e32 v0, v56, v40, vcc
	v_cmp_o_f32_e32 vcc, v4, v4
	.loc	1 29 34                         ; swiglu_aot.py:29:34
	buffer_store_short v0, v18, s[4:7], 0 offen
	.loc	1 28 44                         ; swiglu_aot.py:28:44
	v_lshlrev_b32_e32 v44, 16, v8
	v_cndmask_b32_e32 v0, v56, v26, vcc
	v_cmp_o_f32_e32 vcc, v25, v25
	.loc	1 29 34                         ; swiglu_aot.py:29:34
	buffer_store_short v0, v18, s[4:7], 0 offen offset:1024
	.loc	1 28 44                         ; swiglu_aot.py:28:44
	v_lshlrev_b32_e32 v45, 16, v50
	v_cndmask_b32_e32 v0, v56, v41, vcc
	v_cmp_o_f32_e32 vcc, v5, v5
	.loc	1 29 34                         ; swiglu_aot.py:29:34
	buffer_store_short v0, v18, s[4:7], 0 offen offset:2048
	.loc	1 28 44                         ; swiglu_aot.py:28:44
	v_lshrrev_b32_e32 v22, 16, v22
	v_cndmask_b32_e32 v0, v56, v24, vcc
	v_cmp_o_f32_e32 vcc, v23, v23
	v_add3_u32 v43, v21, v43, s0
	v_bfe_u32 v20, v7, 16, 1
	v_mul_f32_e32 v44, v45, v44
	v_and_b32_e32 v8, 0xffff0000, v8
	v_lshlrev_b32_e32 v46, 16, v51
	.loc	1 29 34                         ; swiglu_aot.py:29:34
	buffer_store_short v0, v18, s[4:7], 0 offen offset:3072
	.loc	1 28 44                         ; swiglu_aot.py:28:44
	v_cndmask_b32_e32 v0, v56, v42, vcc
	v_cmp_o_f32_e32 vcc, v6, v6
	v_lshrrev_b32_e32 v43, 16, v43
	v_add3_u32 v20, v7, v20, s0
	v_bfe_u32 v45, v44, 16, 1
	v_mul_f32_e32 v8, v46, v8
	v_lshlrev_b32_e32 v47, 16, v9
	.loc	1 29 34                         ; swiglu_aot.py:29:34
	buffer_store_short v0, v17, s[4:7], 0 offen
	.loc	1 28 44                         ; swiglu_aot.py:28:44
	v_cndmask_b32_e32 v0, v56, v22, vcc
	v_cmp_o_f32_e32 vcc, v21, v21
	v_lshrrev_b32_e32 v20, 16, v20
	v_add3_u32 v45, v44, v45, s0
	v_bfe_u32 v46, v8, 16, 1
	v_mul_f32_e32 v47, v48, v47
	v_and_b32_e32 v9, 0xffff0000, v9
	s_waitcnt vmcnt(16)
	v_lshlrev_b32_e32 v49, 16, v57
	.loc	1 29 34                         ; swiglu_aot.py:29:34
	buffer_store_short v0, v17, s[4:7], 0 offen offset:1024
	.loc	1 28 44                         ; swiglu_aot.py:28:44
	v_cndmask_b32_e32 v0, v56, v43, vcc
	v_cmp_o_f32_e32 vcc, v7, v7
	v_lshrrev_b32_e32 v45, 16, v45
	v_add3_u32 v46, v8, v46, s0
	v_bfe_u32 v48, v47, 16, 1
	v_mul_f32_e32 v9, v49, v9
	v_lshlrev_b32_e32 v50, 16, v10
	s_waitcnt vmcnt(16)
	v_lshlrev_b32_e32 v51, 16, v58
	.loc	1 29 34                         ; swiglu_aot.py:29:34
	buffer_store_short v0, v17, s[4:7], 0 offen offset:2048
	.loc	1 28 44                         ; swiglu_aot.py:28:44
	v_cndmask_b32_e32 v0, v56, v20, vcc
	v_cmp_o_f32_e32 vcc, v44, v44
	v_lshrrev_b32_e32 v46, 16, v46
	v_add3_u32 v48, v47, v48, s0
	v_bfe_u32 v49, v9, 16, 1
	v_mul_f32_e32 v50, v51, v50
	v_and_b32_e32 v10, 0xffff0000, v10
	s_waitcnt vmcnt(16)
	v_lshlrev_b32_e32 v52, 16, v59
	s_waitcnt vmcnt(15)
	v_lshlrev_b32_e32 v54, 16, v60
	.loc	1 29 34                         ; swiglu_aot.py:29:34
	buffer_store_short v0, v17, s[4:7], 0 offen offset:3072
	.loc	1 28 44                         ; swiglu_aot.py:28:44
	v_cndmask_b32_e32 v0, v56, v45, vcc
	v_cmp_o_f32_e32 vcc, v8, v8
	v_lshrrev_b32_e32 v48, 16, v48
	v_add3_u32 v49, v9, v49, s0
	v_bfe_u32 v51, v50, 16, 1
	v_mul_f32_e32 v10, v52, v10
	v_mul_f32_e32 v53, v54, v53
	.loc	1 29 34                         ; swiglu_aot.py:29:34
	buffer_store_short v0, v15, s[4:7], 0 offen
	.loc	1 28 44                         ; swiglu_aot.py:28:44
	v_cndmask_b32_e32 v0, v56, v46, vcc
	v_cmp_o_f32_e32 vcc, v47, v47
	v_lshrrev_b32_e32 v49, 16, v49
	v_add3_u32 v51, v50, v51, s0
	v_bfe_u32 v52, v10, 16, 1
	v_bfe_u32 v55, v53, 16, 1
	v_mul_f32_e32 v11, v54, v11
	.loc	1 29 34                         ; swiglu_aot.py:29:34
	buffer_store_short v0, v15, s[4:7], 0 offen offset:1024
	.loc	1 28 44                         ; swiglu_aot.py:28:44
	v_cndmask_b32_e32 v0, v56, v48, vcc
	v_cmp_o_f32_e32 vcc, v9, v9
	v_lshrrev_b32_e32 v51, 16, v51
	v_add3_u32 v52, v10, v52, s0
	v_add_u32_e32 v55, v53, v55
	v_bfe_u32 v54, v11, 16, 1
	.loc	1 29 34                         ; swiglu_aot.py:29:34
	buffer_store_short v0, v15, s[4:7], 0 offen offset:2048
	.loc	1 28 44                         ; swiglu_aot.py:28:44
	v_cndmask_b32_e32 v0, v56, v49, vcc
	v_cmp_o_f32_e32 vcc, v50, v50
	v_lshrrev_b32_e32 v52, 16, v52
	v_add_u32_e32 v55, 0x7fff, v55
	v_add_u32_e32 v54, v11, v54
	.loc	1 29 34                         ; swiglu_aot.py:29:34
	buffer_store_short v0, v15, s[4:7], 0 offen offset:3072
	.loc	1 28 44                         ; swiglu_aot.py:28:44
	v_cndmask_b32_e32 v0, v56, v51, vcc
	v_cmp_o_f32_e32 vcc, v10, v10
	v_lshrrev_b32_e32 v55, 16, v55
	v_add_u32_e32 v54, 0x7fff, v54
	.loc	1 29 34                         ; swiglu_aot.py:29:34
	buffer_store_short v0, v13, s[4:7], 0 offen
	.loc	1 28 44                         ; swiglu_aot.py:28:44
	v_cndmask_b32_e32 v0, v56, v52, vcc
	v_cmp_o_f32_e32 vcc, v53, v53
	v_lshrrev_b32_e32 v54, 16, v54
	.loc	1 29 34                         ; swiglu_aot.py:29:34
	buffer_store_short v0, v14, s[4:7], 0 offen
	.loc	1 28 44                         ; swiglu_aot.py:28:44
	v_cndmask_b32_e32 v0, v56, v55, vcc
	v_cmp_o_f32_e32 vcc, v11, v11
	.loc	1 29 34                         ; swiglu_aot.py:29:34
	buffer_store_short v0, v12, s[4:7], 0 offen
	.loc	1 28 44                         ; swiglu_aot.py:28:44
	s_nop 0
	v_cndmask_b32_e32 v1, v56, v54, vcc
	.loc	1 29 34                         ; swiglu_aot.py:29:34
	buffer_store_short v1, v12, s[4:7], 0 offen
	buffer_store_short v0, v12, s[4:7], 0 offen
	;; [unrolled: 1-line block ×9, first 2 shown]
	.loc	1 29 4 is_stmt 0                ; swiglu_aot.py:29:4
	s_endpgm
.Ltmp86:
	.section	.rodata,"a",@progbits
	.p2align	6, 0x0
	.amdhsa_kernel _swiglu_forward_kernel
		.amdhsa_group_segment_fixed_size 0
		.amdhsa_private_segment_fixed_size 0
		.amdhsa_kernarg_size 48
		.amdhsa_user_sgpr_count 14
		.amdhsa_user_sgpr_dispatch_ptr 0
		.amdhsa_user_sgpr_queue_ptr 0
		.amdhsa_user_sgpr_kernarg_segment_ptr 1
		.amdhsa_user_sgpr_dispatch_id 0
		.amdhsa_user_sgpr_kernarg_preload_length 12
		.amdhsa_user_sgpr_kernarg_preload_offset 0
		.amdhsa_user_sgpr_private_segment_size 0
		.amdhsa_uses_dynamic_stack 0
		.amdhsa_enable_private_segment 0
		.amdhsa_system_sgpr_workgroup_id_x 1
		.amdhsa_system_sgpr_workgroup_id_y 0
		.amdhsa_system_sgpr_workgroup_id_z 0
		.amdhsa_system_sgpr_workgroup_info 0
		.amdhsa_system_vgpr_workitem_id 0
		.amdhsa_next_free_vgpr 61
		.amdhsa_next_free_sgpr 18
		.amdhsa_accum_offset 64
		.amdhsa_reserve_vcc 1
		.amdhsa_reserve_xnack_mask 1
		.amdhsa_float_round_mode_32 0
		.amdhsa_float_round_mode_16_64 0
		.amdhsa_float_denorm_mode_32 3
		.amdhsa_float_denorm_mode_16_64 3
		.amdhsa_dx10_clamp 1
		.amdhsa_ieee_mode 1
		.amdhsa_fp16_overflow 0
		.amdhsa_tg_split 0
		.amdhsa_exception_fp_ieee_invalid_op 0
		.amdhsa_exception_fp_denorm_src 0
		.amdhsa_exception_fp_ieee_div_zero 0
		.amdhsa_exception_fp_ieee_overflow 0
		.amdhsa_exception_fp_ieee_underflow 0
		.amdhsa_exception_fp_ieee_inexact 0
		.amdhsa_exception_int_div_zero 0
	.end_amdhsa_kernel
	.text
.Lfunc_end0:
	.size	_swiglu_forward_kernel, .Lfunc_end0-_swiglu_forward_kernel
	.cfi_endproc
                                        ; -- End function
	.set _swiglu_forward_kernel.num_vgpr, 61
	.set _swiglu_forward_kernel.num_agpr, 0
	.set _swiglu_forward_kernel.numbered_sgpr, 18
	.set _swiglu_forward_kernel.num_named_barrier, 0
	.set _swiglu_forward_kernel.private_seg_size, 0
	.set _swiglu_forward_kernel.uses_vcc, 1
	.set _swiglu_forward_kernel.uses_flat_scratch, 0
	.set _swiglu_forward_kernel.has_dyn_sized_stack, 0
	.set _swiglu_forward_kernel.has_recursion, 0
	.set _swiglu_forward_kernel.has_indirect_call, 0
	.section	.AMDGPU.csdata,"",@progbits
; Kernel info:
; codeLenInByte = 5484
; TotalNumSgprs: 24
; NumVgprs: 61
; NumAgprs: 0
; TotalNumVgprs: 61
; ScratchSize: 0
; MemoryBound: 0
; FloatMode: 240
; IeeeMode: 1
; LDSByteSize: 0 bytes/workgroup (compile time only)
; SGPRBlocks: 2
; VGPRBlocks: 7
; NumSGPRsForWavesPerEU: 24
; NumVGPRsForWavesPerEU: 61
; AccumOffset: 64
; Occupancy: 8
; WaveLimiterHint : 0
; COMPUTE_PGM_RSRC2:SCRATCH_EN: 0
; COMPUTE_PGM_RSRC2:USER_SGPR: 14
; COMPUTE_PGM_RSRC2:TRAP_HANDLER: 0
; COMPUTE_PGM_RSRC2:TGID_X_EN: 1
; COMPUTE_PGM_RSRC2:TGID_Y_EN: 0
; COMPUTE_PGM_RSRC2:TGID_Z_EN: 0
; COMPUTE_PGM_RSRC2:TIDIG_COMP_CNT: 0
; COMPUTE_PGM_RSRC3_GFX90A:ACCUM_OFFSET: 15
; COMPUTE_PGM_RSRC3_GFX90A:TG_SPLIT: 0
	.text
	.p2alignl 6, 3212836864
	.fill 256, 4, 3212836864
	.section	.AMDGPU.gpr_maximums,"",@progbits
	.set amdgpu.max_num_vgpr, 0
	.set amdgpu.max_num_agpr, 0
	.set amdgpu.max_num_sgpr, 0
	.set amdgpu.max_num_named_barrier, 0
	.text
	.section	.debug_abbrev,"",@progbits
	.byte	1                               ; Abbreviation Code
	.byte	17                              ; DW_TAG_compile_unit
	.byte	1                               ; DW_CHILDREN_yes
	.byte	37                              ; DW_AT_producer
	.byte	14                              ; DW_FORM_strp
	.byte	19                              ; DW_AT_language
	.byte	5                               ; DW_FORM_data2
	.byte	3                               ; DW_AT_name
	.byte	14                              ; DW_FORM_strp
	.byte	16                              ; DW_AT_stmt_list
	.byte	23                              ; DW_FORM_sec_offset
	.byte	27                              ; DW_AT_comp_dir
	.byte	14                              ; DW_FORM_strp
	.byte	17                              ; DW_AT_low_pc
	.byte	1                               ; DW_FORM_addr
	.byte	18                              ; DW_AT_high_pc
	.byte	6                               ; DW_FORM_data4
	.byte	0                               ; EOM(1)
	.byte	0                               ; EOM(2)
	.byte	2                               ; Abbreviation Code
	.byte	46                              ; DW_TAG_subprogram
	.byte	0                               ; DW_CHILDREN_no
	.byte	3                               ; DW_AT_name
	.byte	14                              ; DW_FORM_strp
	.byte	32                              ; DW_AT_inline
	.byte	11                              ; DW_FORM_data1
	.byte	0                               ; EOM(1)
	.byte	0                               ; EOM(2)
	.byte	3                               ; Abbreviation Code
	.byte	46                              ; DW_TAG_subprogram
	.byte	1                               ; DW_CHILDREN_yes
	.byte	17                              ; DW_AT_low_pc
	.byte	1                               ; DW_FORM_addr
	.byte	18                              ; DW_AT_high_pc
	.byte	6                               ; DW_FORM_data4
	.byte	49                              ; DW_AT_abstract_origin
	.byte	19                              ; DW_FORM_ref4
	.byte	0                               ; EOM(1)
	.byte	0                               ; EOM(2)
	.byte	4                               ; Abbreviation Code
	.byte	29                              ; DW_TAG_inlined_subroutine
	.byte	1                               ; DW_CHILDREN_yes
	.byte	49                              ; DW_AT_abstract_origin
	.byte	19                              ; DW_FORM_ref4
	.byte	85                              ; DW_AT_ranges
	.byte	23                              ; DW_FORM_sec_offset
	.byte	88                              ; DW_AT_call_file
	.byte	11                              ; DW_FORM_data1
	.byte	89                              ; DW_AT_call_line
	.byte	11                              ; DW_FORM_data1
	.byte	87                              ; DW_AT_call_column
	.byte	11                              ; DW_FORM_data1
	.byte	0                               ; EOM(1)
	.byte	0                               ; EOM(2)
	.byte	5                               ; Abbreviation Code
	.byte	29                              ; DW_TAG_inlined_subroutine
	.byte	0                               ; DW_CHILDREN_no
	.byte	49                              ; DW_AT_abstract_origin
	.byte	19                              ; DW_FORM_ref4
	.byte	85                              ; DW_AT_ranges
	.byte	23                              ; DW_FORM_sec_offset
	.byte	88                              ; DW_AT_call_file
	.byte	11                              ; DW_FORM_data1
	.byte	89                              ; DW_AT_call_line
	.byte	11                              ; DW_FORM_data1
	.byte	87                              ; DW_AT_call_column
	.byte	11                              ; DW_FORM_data1
	.byte	0                               ; EOM(1)
	.byte	0                               ; EOM(2)
	;; [unrolled: 1-line block ×3, first 2 shown]
	.section	.debug_info,"",@progbits
.Lcu_begin0:
	.long	.Ldebug_info_end0-.Ldebug_info_start0 ; Length of Unit
.Ldebug_info_start0:
	.short	4                               ; DWARF version number
	.long	.debug_abbrev                   ; Offset Into Abbrev. Section
	.byte	8                               ; Address Size (in bytes)
	.byte	1                               ; Abbrev [1] 0xb:0x51 DW_TAG_compile_unit
	.long	.Linfo_string0                  ; DW_AT_producer
	.short	2                               ; DW_AT_language
	.long	.Linfo_string1                  ; DW_AT_name
	.long	.Lline_table_start0             ; DW_AT_stmt_list
	.long	.Linfo_string2                  ; DW_AT_comp_dir
	.quad	.Lfunc_begin0                   ; DW_AT_low_pc
	.long	.Lfunc_end0-.Lfunc_begin0       ; DW_AT_high_pc
	.byte	2                               ; Abbrev [2] 0x2a:0x6 DW_TAG_subprogram
	.long	.Linfo_string3                  ; DW_AT_name
	.byte	1                               ; DW_AT_inline
	.byte	3                               ; Abbrev [3] 0x30:0x2b DW_TAG_subprogram
	.quad	.Lfunc_begin0                   ; DW_AT_low_pc
	.long	.Lfunc_end0-.Lfunc_begin0       ; DW_AT_high_pc
	.long	42                              ; DW_AT_abstract_origin
	.byte	4                               ; Abbrev [4] 0x41:0x19 DW_TAG_inlined_subroutine
	.long	42                              ; DW_AT_abstract_origin
	.long	.Ldebug_ranges0                 ; DW_AT_ranges
	.byte	1                               ; DW_AT_call_file
	.byte	28                              ; DW_AT_call_line
	.byte	17                              ; DW_AT_call_column
	.byte	5                               ; Abbrev [5] 0x4d:0xc DW_TAG_inlined_subroutine
	.long	42                              ; DW_AT_abstract_origin
	.long	.Ldebug_ranges1                 ; DW_AT_ranges
	.byte	1                               ; DW_AT_call_file
	.byte	9                               ; DW_AT_call_line
	.byte	26                              ; DW_AT_call_column
	.byte	0                               ; End Of Children Mark
	.byte	0                               ; End Of Children Mark
	;; [unrolled: 1-line block ×3, first 2 shown]
.Ldebug_info_end0:
	.section	.debug_ranges,"",@progbits
.Ldebug_ranges0:
	.quad	.Ltmp2-.Lfunc_begin0
	.quad	.Ltmp3-.Lfunc_begin0
	;; [unrolled: 1-line block ×66, first 2 shown]
	.quad	0
	.quad	0
.Ldebug_ranges1:
	.quad	.Ltmp2-.Lfunc_begin0
	.quad	.Ltmp3-.Lfunc_begin0
	;; [unrolled: 1-line block ×80, first 2 shown]
	.quad	0
	.quad	0
	.section	.debug_str,"MS",@progbits,1
.Linfo_string0:
	.asciz	"triton"                        ; string offset=0
.Linfo_string1:
	.asciz	"swiglu_aot.py"                 ; string offset=7
.Linfo_string2:
	.asciz	"/root/src/amdgpu-assembly/repos/linkedin__Liger-Kernel/triton_aot_kernels" ; string offset=21
.Linfo_string3:
	.asciz	"_swiglu_forward_kernel"        ; string offset=95
	.section	".note.GNU-stack","",@progbits
	.amdgpu_metadata
---
amdhsa.kernels:
  - .agpr_count:     0
    .args:
      - .address_space:  global
        .offset:         0
        .size:           8
        .value_kind:     global_buffer
      - .address_space:  global
        .offset:         8
        .size:           8
        .value_kind:     global_buffer
      - .address_space:  global
        .offset:         16
        .size:           8
        .value_kind:     global_buffer
      - .offset:         24
        .size:           4
        .value_kind:     by_value
      - .offset:         28
        .size:           4
        .value_kind:     by_value
      - .address_space:  global
        .offset:         32
        .size:           8
        .value_kind:     global_buffer
      - .address_space:  global
        .offset:         40
        .size:           8
        .value_kind:     global_buffer
    .group_segment_fixed_size: 0
    .kernarg_segment_align: 8
    .kernarg_segment_size: 48
    .max_flat_workgroup_size: 512
    .name:           _swiglu_forward_kernel
    .private_segment_fixed_size: 0
    .sgpr_count:     24
    .sgpr_spill_count: 0
    .symbol:         _swiglu_forward_kernel.kd
    .uniform_work_group_size: 1
    .uses_dynamic_stack: false
    .vgpr_count:     61
    .vgpr_spill_count: 0
    .wavefront_size: 64
amdhsa.target:   amdgcn-amd-amdhsa--gfx950
amdhsa.version:
  - 1
  - 2
...

	.end_amdgpu_metadata
	.section	.debug_line,"",@progbits
.Lline_table_start0:
